;; amdgpu-corpus repo=vllm-project/vllm kind=triton arch=gfx90a opt=O3 lang=triton
	.amdgcn_target "amdgcn-amd-amdhsa--gfx90a"
	.amdhsa_code_object_version 5
	.text
	.globl	scaled_mm_kernel                ; -- Begin function scaled_mm_kernel
	.p2align	8
	.type	scaled_mm_kernel,@function
scaled_mm_kernel:                       ; @scaled_mm_kernel
.Lfunc_begin0:
	.cfi_sections .debug_frame
	.cfi_startproc
; %bb.107:
	.file	1 "/root/src/amdgpu-assembly/repos/vllm-project__vllm/triton_aot_kernels" "triton_scaled_mm_aot.py"
	.loc	1 8 0 prologue_end              ; triton_scaled_mm_aot.py:8:0
	s_load_dwordx2 s[6:7], s[4:5], 0x0
	s_load_dwordx8 s[8:15], s[4:5], 0x8
	s_waitcnt lgkmcnt(0)
	s_branch .LBB0_0
	.loc	1 0 0 is_stmt 0                 ; :0:0
.Ltmp0:
	.p2align	8
; %bb.108:
.LBB0_0:
	s_load_dwordx4 s[36:39], s[4:5], 0x28
	s_load_dword s30, s[4:5], 0x38
.Ltmp1:
	.loc	1 35 19 is_stmt 1               ; triton_scaled_mm_aot.py:35:19
	s_abs_i32 s2, s16
	.loc	1 46 53                         ; triton_scaled_mm_aot.py:46:53
	v_and_b32_e32 v22, 31, v0
	v_and_b32_e32 v53, 0x80, v0
.Ltmp2:
	.file	2 "/root/.local/lib/python3.13/site-packages/triton/language" "standard.py"
	.loc	2 43 17                         ; standard.py:43:17 @[ triton_scaled_mm_aot.py:33:27 ]
	s_waitcnt lgkmcnt(0)
	s_add_i32 s0, s39, 63
	.loc	2 43 30 is_stmt 0               ; standard.py:43:30 @[ triton_scaled_mm_aot.py:33:27 ]
	s_ashr_i32 s1, s0, 31
	s_lshr_b32 s1, s1, 26
	s_add_i32 s0, s0, s1
	s_ashr_i32 s0, s0, 6
.Ltmp3:
	.loc	1 35 19 is_stmt 1               ; triton_scaled_mm_aot.py:35:19
	s_abs_i32 s1, s0
	v_cvt_f32_u32_e32 v1, s1
	s_sub_i32 s17, 0, s1
	s_xor_b32 s3, s16, s0
	s_ashr_i32 s3, s3, 31
	v_rcp_iflag_f32_e32 v1, v1
	.loc	1 47 28                         ; triton_scaled_mm_aot.py:47:28
	s_ashr_i32 s45, s38, 31
	.loc	1 50 28                         ; triton_scaled_mm_aot.py:50:28
	s_ashr_i32 s35, s39, 31
.Ltmp4:
	.loc	2 43 17                         ; standard.py:43:17 @[ triton_scaled_mm_aot.py:77:33 ]
	s_add_i32 s28, s30, 31
.Ltmp5:
	.loc	1 35 19                         ; triton_scaled_mm_aot.py:35:19
	v_mul_f32_e32 v1, 0x4f7ffffe, v1
	v_cvt_u32_f32_e32 v1, v1
	.loc	1 47 28                         ; triton_scaled_mm_aot.py:47:28
	s_mov_b32 s44, s38
	.loc	1 50 28                         ; triton_scaled_mm_aot.py:50:28
	s_mov_b32 s34, s39
	.loc	1 77 22                         ; triton_scaled_mm_aot.py:77:22
	s_cmp_lt_i32 s28, 32
	.loc	1 35 19                         ; triton_scaled_mm_aot.py:35:19
	v_mul_lo_u32 v2, s17, v1
	v_mul_hi_u32 v2, v1, v2
	v_add_u32_e32 v1, v1, v2
	v_mul_hi_u32 v1, s2, v1
	v_mul_lo_u32 v2, v1, s1
	v_sub_u32_e32 v2, s2, v2
	v_add_u32_e32 v3, 1, v1
	v_subrev_u32_e32 v4, s1, v2
	v_cmp_le_u32_e32 vcc, s1, v2
	v_cndmask_b32_e32 v1, v1, v3, vcc
	v_cndmask_b32_e32 v2, v2, v4, vcc
	v_add_u32_e32 v3, 1, v1
	v_cmp_le_u32_e32 vcc, s1, v2
	v_cndmask_b32_e32 v1, v1, v3, vcc
	v_xor_b32_e32 v1, s3, v1
	v_subrev_u32_e32 v1, s3, v1
	.loc	1 36 18                         ; triton_scaled_mm_aot.py:36:18
	v_mul_lo_u32 v2, v1, s0
	v_sub_u32_e32 v2, s16, v2
	.loc	1 46 53                         ; triton_scaled_mm_aot.py:46:53
	v_lshrrev_b32_e32 v3, 1, v0
	.loc	1 46 25 is_stmt 0               ; triton_scaled_mm_aot.py:46:25
	v_lshlrev_b32_e32 v23, 6, v1
	.loc	1 46 53                         ; triton_scaled_mm_aot.py:46:53
	v_and_b32_e32 v1, 32, v0
	v_and_b32_e32 v64, 32, v3
	.loc	1 49 25 is_stmt 1               ; triton_scaled_mm_aot.py:49:25
	v_lshlrev_b32_e32 v62, 6, v2
	v_mov_b32_e32 v3, 0
	.loc	1 46 53                         ; triton_scaled_mm_aot.py:46:53
	v_lshrrev_b32_e32 v63, 3, v1
	.loc	1 46 40 is_stmt 0               ; triton_scaled_mm_aot.py:46:40
	v_ashrrev_i32_e32 v21, 31, v23
	.loc	1 49 40 is_stmt 1               ; triton_scaled_mm_aot.py:49:40
	v_ashrrev_i32_e32 v19, 31, v62
	v_mov_b32_e32 v2, v3
	v_mov_b32_e32 v5, v3
	;; [unrolled: 1-line block ×15, first 2 shown]
	.loc	1 77 22                         ; triton_scaled_mm_aot.py:77:22
	s_cbranch_scc1 .LBB0_36
; %bb.1:                                ; %.lr.ph
	.loc	1 46 53                         ; triton_scaled_mm_aot.py:46:53
	v_lshrrev_b32_e32 v16, 5, v0
.Ltmp6:
	.loc	2 43 30                         ; standard.py:43:30 @[ triton_scaled_mm_aot.py:77:33 ]
	s_ashr_i32 s29, s28, 31
.Ltmp7:
	.loc	1 46 53                         ; triton_scaled_mm_aot.py:46:53
	v_or_b32_e32 v20, v16, v23
.Ltmp8:
	.loc	2 43 30                         ; standard.py:43:30 @[ triton_scaled_mm_aot.py:77:33 ]
	s_lshr_b32 s29, s29, 27
.Ltmp9:
	.loc	1 46 40                         ; triton_scaled_mm_aot.py:46:40
	v_or_b32_e32 v2, 8, v20
	v_mov_b32_e32 v3, v21
.Ltmp10:
	.loc	2 43 30                         ; standard.py:43:30 @[ triton_scaled_mm_aot.py:77:33 ]
	s_add_i32 s28, s28, s29
	s_load_dwordx4 s[40:43], s[4:5], 0x3c
.Ltmp11:
	.loc	1 47 28                         ; triton_scaled_mm_aot.py:47:28
	v_cmp_gt_i64_e64 s[0:1], s[44:45], v[2:3]
.Ltmp12:
	.loc	2 43 30                         ; standard.py:43:30 @[ triton_scaled_mm_aot.py:77:33 ]
	s_ashr_i32 s33, s28, 5
	v_mov_b32_e32 v3, 0x84
.Ltmp13:
	.loc	1 46 53                         ; triton_scaled_mm_aot.py:46:53
	v_cmp_eq_u32_e64 s[28:29], 0, v53
	v_or_b32_e32 v17, 24, v16
	.loc	1 46 40 is_stmt 0               ; triton_scaled_mm_aot.py:46:40
	v_or_b32_e32 v4, 16, v20
	v_mov_b32_e32 v5, v21
	v_and_b32_e32 v2, 0x7f, v0
	v_cndmask_b32_e64 v3, v3, 0, s[28:29]
	.loc	1 46 53                         ; triton_scaled_mm_aot.py:46:53
	v_and_b32_e32 v24, 63, v0
	.loc	1 46 40                         ; triton_scaled_mm_aot.py:46:40
	v_or_b32_e32 v6, v23, v17
	v_mov_b32_e32 v7, v21
	v_or_b32_e32 v10, 40, v20
	v_mov_b32_e32 v11, v21
	.loc	1 47 28 is_stmt 1               ; triton_scaled_mm_aot.py:47:28
	v_cmp_gt_i64_e64 s[2:3], s[44:45], v[4:5]
	v_xor_b32_e32 v5, v3, v2
	v_and_b32_e32 v3, 12, v0
	v_cmp_gt_i64_e64 s[24:25], s[44:45], v[6:7]
	v_cmp_gt_i64_e64 s[16:17], s[44:45], v[10:11]
	v_lshlrev_b32_e32 v2, 5, v22
	v_lshlrev_b32_e32 v7, 3, v53
	v_xor_b32_e32 v3, v63, v3
	.loc	1 77 22                         ; triton_scaled_mm_aot.py:77:22
	v_add_co_u32_e64 v11, s[28:29], v62, v24
	.loc	1 46 40                         ; triton_scaled_mm_aot.py:46:40
	v_or_b32_e32 v12, 48, v20
	v_mov_b32_e32 v13, v21
	.loc	1 49 40                         ; triton_scaled_mm_aot.py:49:40
	v_or_b32_e32 v18, v62, v24
	v_or3_b32 v7, v2, v7, v3
	.loc	1 77 22                         ; triton_scaled_mm_aot.py:77:22
	v_addc_co_u32_e64 v2, s[28:29], 0, v19, s[28:29]
	.loc	1 47 28                         ; triton_scaled_mm_aot.py:47:28
	v_cmp_gt_i64_e64 s[18:19], s[44:45], v[12:13]
	.loc	1 50 28                         ; triton_scaled_mm_aot.py:50:28
	v_cmp_gt_i64_e64 s[22:23], s[34:35], v[18:19]
	.loc	1 52 29                         ; triton_scaled_mm_aot.py:52:29
	v_lshrrev_b32_e32 v18, 6, v0
	.loc	1 77 22                         ; triton_scaled_mm_aot.py:77:22
	s_waitcnt lgkmcnt(0)
	v_mul_lo_u32 v13, v2, s43
	v_pk_mov_b32 v[2:3], s[8:9], s[8:9] op_sel:[0,1]
	v_mad_u64_u32 v[24:25], s[8:9], v11, s43, v[2:3]
	v_or_b32_e32 v2, 24, v18
	v_mad_i64_i32 v[26:27], s[8:9], v2, s42, 0
	v_or_b32_e32 v2, 20, v18
	.loc	1 46 53                         ; triton_scaled_mm_aot.py:46:53
	v_or_b32_e32 v30, 56, v16
	.loc	1 54 61                         ; triton_scaled_mm_aot.py:54:61
	s_ashr_i32 s50, s43, 31
	.loc	1 77 22                         ; triton_scaled_mm_aot.py:77:22
	v_mad_i64_i32 v[28:29], s[8:9], v2, s42, 0
	v_mul_lo_u32 v12, v11, s50
	v_add_co_u32_e64 v11, s[8:9], v23, v30
	v_addc_co_u32_e64 v2, s[8:9], 0, v21, s[8:9]
	v_add3_u32 v25, v13, v25, v12
	v_mul_lo_u32 v13, v2, s40
	v_pk_mov_b32 v[2:3], s[6:7], s[6:7] op_sel:[0,1]
	.loc	1 46 40                         ; triton_scaled_mm_aot.py:46:40
	v_or_b32_e32 v14, v23, v30
	.loc	1 53 28                         ; triton_scaled_mm_aot.py:53:28
	s_ashr_i32 s51, s40, 31
	.loc	1 77 22                         ; triton_scaled_mm_aot.py:77:22
	v_mad_u64_u32 v[30:31], s[6:7], v11, s40, v[2:3]
	v_mul_lo_u32 v12, v11, s51
	v_add_co_u32_e64 v11, s[6:7], v23, v16
	v_add3_u32 v31, v13, v31, v12
	v_addc_co_u32_e64 v12, s[6:7], 0, v21, s[6:7]
	.loc	1 46 40                         ; triton_scaled_mm_aot.py:46:40
	v_mov_b32_e32 v15, v21
	.loc	1 77 22                         ; triton_scaled_mm_aot.py:77:22
	v_add_co_u32_e64 v13, s[6:7], 48, v11
	.loc	1 47 28                         ; triton_scaled_mm_aot.py:47:28
	v_cmp_gt_i64_e64 s[20:21], s[44:45], v[14:15]
	.loc	1 77 22                         ; triton_scaled_mm_aot.py:77:22
	v_addc_co_u32_e64 v14, s[6:7], 0, v12, s[6:7]
	v_mad_u64_u32 v[32:33], s[6:7], v13, s40, v[2:3]
	v_mul_lo_u32 v15, v13, s51
	v_mul_lo_u32 v14, v14, s40
	v_add_co_u32_e64 v13, s[6:7], 40, v11
	v_add3_u32 v33, v14, v33, v15
	v_addc_co_u32_e64 v14, s[6:7], 0, v12, s[6:7]
	v_mad_u64_u32 v[34:35], s[6:7], v13, s40, v[2:3]
	v_mul_lo_u32 v15, v13, s51
	v_mul_lo_u32 v14, v14, s40
	v_add_co_u32_e64 v13, s[6:7], 32, v11
	v_add3_u32 v35, v14, v35, v15
	;; [unrolled: 6-line block ×4, first 2 shown]
	v_addc_co_u32_e64 v14, s[6:7], 0, v12, s[6:7]
	v_mad_u64_u32 v[40:41], s[6:7], v13, s40, v[2:3]
	.loc	1 46 40                         ; triton_scaled_mm_aot.py:46:40
	v_or_b32_e32 v8, 32, v20
	v_mov_b32_e32 v9, v21
	.loc	1 47 28                         ; triton_scaled_mm_aot.py:47:28
	v_cmp_gt_i64_e32 vcc, s[44:45], v[20:21]
	.loc	1 77 22                         ; triton_scaled_mm_aot.py:77:22
	v_add3_u32 v4, 0, v64, v22
	v_lshlrev_b32_e32 v1, 3, v1
	v_or_b32_e32 v20, 16, v18
	v_mul_lo_u32 v15, v13, s51
	v_mul_lo_u32 v14, v14, s40
	v_add_co_u32_e64 v13, s[6:7], 8, v11
	.loc	1 47 28                         ; triton_scaled_mm_aot.py:47:28
	v_cmp_gt_i64_e64 s[26:27], s[44:45], v[8:9]
	v_or_b32_e32 v9, 0x300, v0
	v_or_b32_e32 v10, 0x700, v0
	.loc	1 77 22                         ; triton_scaled_mm_aot.py:77:22
	v_add3_u32 v41, v14, v41, v15
	v_addc_co_u32_e64 v14, s[6:7], 0, v12, s[6:7]
	v_add_u32_e32 v65, v4, v1
	v_add_u32_e32 v70, 0, v0
	v_mad_i64_i32 v[0:1], s[6:7], v20, s42, 0
	v_or_b32_e32 v20, 8, v18
	v_mad_i64_i32 v[46:47], s[6:7], v20, s42, 0
	v_or_b32_e32 v20, 4, v18
	.loc	1 90 33                         ; triton_scaled_mm_aot.py:90:33
	s_lshl_b32 s46, s42, 5
	.loc	1 89 33                         ; triton_scaled_mm_aot.py:89:33
	s_lshl_b32 s47, s41, 5
	v_xor_b32_e32 v6, 8, v5
	v_xor_b32_e32 v8, 8, v7
	.loc	1 77 22                         ; triton_scaled_mm_aot.py:77:22
	v_mul_lo_u32 v15, v13, s51
	v_mul_lo_u32 v14, v14, s40
	v_mad_u64_u32 v[42:43], s[6:7], v13, s40, v[2:3]
	v_mul_lo_u32 v13, v11, s51
	v_mul_lo_u32 v12, v12, s40
	v_mad_u64_u32 v[44:45], s[6:7], v11, s40, v[2:3]
	v_mov_b32_e32 v2, 0
	v_mad_i64_i32 v[48:49], s[6:7], v20, s42, 0
	.loc	1 52 29                         ; triton_scaled_mm_aot.py:52:29
	v_or_b32_e32 v20, 28, v18
	v_or_b32_e32 v52, 12, v18
	.loc	1 78 30                         ; triton_scaled_mm_aot.py:78:30
	s_ashr_i32 s31, s30, 31
	s_ashr_i32 s48, s47, 31
	;; [unrolled: 1-line block ×3, first 2 shown]
	.loc	1 77 22                         ; triton_scaled_mm_aot.py:77:22
	v_add3_u32 v43, v14, v43, v15
	v_add3_u32 v45, v12, v45, v13
	s_mov_b64 s[28:29], 0
	v_add_u32_e32 v66, 0, v5
	v_add_u32_e32 v67, 0, v6
	;; [unrolled: 1-line block ×6, first 2 shown]
	s_mov_b32 s43, 0xc0c0004
	v_mov_b32_e32 v3, v2
	v_mov_b32_e32 v4, v2
	;; [unrolled: 1-line block ×15, first 2 shown]
	.loc	1 54 28                         ; triton_scaled_mm_aot.py:54:28
	v_mad_i64_i32 v[50:51], s[6:7], s42, v20, 0
	v_mad_i64_i32 v[54:55], s[6:7], s42, v52, 0
	;; [unrolled: 1-line block ×3, first 2 shown]
	.loc	1 53 62                         ; triton_scaled_mm_aot.py:53:62
	v_mad_i64_i32 v[58:59], s[6:7], s41, v22, 0
	s_branch .LBB0_3
.LBB0_2:                                ;   in Loop: Header=BB0_3 Depth=1
	.loc	1 0 62 is_stmt 0                ; triton_scaled_mm_aot.py:0:62
	s_or_b64 exec, exec, s[8:9]
	.loc	1 80 20 is_stmt 1               ; triton_scaled_mm_aot.py:80:20
	s_waitcnt lgkmcnt(0)
	s_barrier
	s_waitcnt vmcnt(0)
	ds_write_b8 v66, v74
	ds_write_b8 v66, v76 offset:512
	ds_write_b8 v66, v78 offset:1024
	;; [unrolled: 1-line block ×7, first 2 shown]
	s_waitcnt lgkmcnt(0)
	s_barrier
	ds_read2_b32 v[74:75], v68 offset1:4
	ds_read2_b32 v[76:77], v69 offset1:4
	.loc	1 83 20                         ; triton_scaled_mm_aot.py:83:20
	s_waitcnt lgkmcnt(0)
	s_barrier
	ds_write_b8 v70, v82
	ds_write_b8 v70, v81 offset:256
	ds_write_b8 v70, v84 offset:512
	ds_write_b8 v71, v83
	ds_write_b8 v70, v86 offset:1024
	ds_write_b8 v70, v85 offset:1280
	;; [unrolled: 1-line block ×3, first 2 shown]
	ds_write_b8 v72, v60
	s_waitcnt lgkmcnt(0)
	s_barrier
	.loc	1 86 35                         ; triton_scaled_mm_aot.py:86:35
	ds_read_u8 v60, v65 offset:64
	ds_read_u8 v61, v65 offset:128
	ds_read_u8 v73, v65
	ds_read_u8 v78, v65 offset:192
	.loc	1 77 22                         ; triton_scaled_mm_aot.py:77:22
	v_add_co_u32_e64 v24, s[6:7], s46, v24
	s_add_u32 s28, s28, 32
	.loc	1 86 35                         ; triton_scaled_mm_aot.py:86:35
	s_waitcnt lgkmcnt(1)
	v_perm_b32 v60, v73, v60, s43
	s_waitcnt lgkmcnt(0)
	v_perm_b32 v61, v61, v78, s43
	v_lshl_or_b32 v60, v61, 16, v60
	.loc	1 77 22                         ; triton_scaled_mm_aot.py:77:22
	s_addc_u32 s29, s29, 0
	s_add_i32 s33, s33, -1
	.loc	1 86 35                         ; triton_scaled_mm_aot.py:86:35
	v_mfma_i32_32x32x8i8 v[2:17], v60, v74, v[2:17]
	ds_read_u8 v60, v65 offset:640
	ds_read_u8 v61, v65 offset:512
	;; [unrolled: 1-line block ×4, first 2 shown]
	.loc	1 77 22                         ; triton_scaled_mm_aot.py:77:22
	s_cmp_lg_u32 s33, 0
	.loc	1 86 35                         ; triton_scaled_mm_aot.py:86:35
	s_waitcnt lgkmcnt(1)
	v_perm_b32 v61, v61, v73, s43
	s_waitcnt lgkmcnt(0)
	v_perm_b32 v60, v60, v74, s43
	v_lshl_or_b32 v60, v60, 16, v61
	s_nop 1
	v_mfma_i32_32x32x8i8 v[2:17], v60, v76, v[2:17]
	ds_read_u8 v60, v65 offset:1088
	ds_read_u8 v61, v65 offset:1152
	;; [unrolled: 1-line block ×4, first 2 shown]
	s_waitcnt lgkmcnt(1)
	v_perm_b32 v60, v73, v60, s43
	s_waitcnt lgkmcnt(0)
	v_perm_b32 v61, v61, v74, s43
	v_lshl_or_b32 v60, v61, 16, v60
	s_nop 1
	v_mfma_i32_32x32x8i8 v[2:17], v60, v75, v[2:17]
	ds_read_u8 v60, v65 offset:1664
	ds_read_u8 v61, v65 offset:1536
	;; [unrolled: 1-line block ×4, first 2 shown]
	s_waitcnt lgkmcnt(1)
	v_perm_b32 v61, v61, v73, s43
	s_waitcnt lgkmcnt(0)
	v_perm_b32 v60, v60, v74, s43
	v_lshl_or_b32 v60, v60, 16, v61
	.loc	1 77 22                         ; triton_scaled_mm_aot.py:77:22
	v_mov_b32_e32 v61, s49
	v_addc_co_u32_e64 v25, s[6:7], v25, v61, s[6:7]
	v_add_co_u32_e64 v30, s[6:7], s47, v30
	.loc	1 86 35                         ; triton_scaled_mm_aot.py:86:35
	v_mfma_i32_32x32x8i8 v[2:17], v60, v77, v[2:17]
	.loc	1 77 22                         ; triton_scaled_mm_aot.py:77:22
	v_mov_b32_e32 v60, s48
	v_addc_co_u32_e64 v31, s[6:7], v31, v60, s[6:7]
	v_add_co_u32_e64 v32, s[6:7], s47, v32
	v_addc_co_u32_e64 v33, s[6:7], v33, v60, s[6:7]
	v_add_co_u32_e64 v34, s[6:7], s47, v34
	;; [unrolled: 2-line block ×7, first 2 shown]
	v_addc_co_u32_e64 v45, s[6:7], v45, v60, s[6:7]
	s_cbranch_scc0 .LBB0_35
.LBB0_3:                                ; =>This Inner Loop Header: Depth=1
	.loc	1 78 30                         ; triton_scaled_mm_aot.py:78:30
	v_mov_b32_e32 v61, s29
	v_add_co_u32_e64 v60, s[6:7], s28, v22
	v_addc_co_u32_e64 v61, s[6:7], 0, v61, s[6:7]
	v_cmp_gt_i64_e64 s[6:7], s[30:31], v[60:61]
	.loc	1 79 38                         ; triton_scaled_mm_aot.py:79:38
	s_and_b64 s[8:9], vcc, s[6:7]
	v_mov_b32_e32 v73, 0
	v_mov_b32_e32 v74, 0
	.loc	1 80 20                         ; triton_scaled_mm_aot.py:80:20
	s_and_saveexec_b64 s[40:41], s[8:9]
	s_cbranch_execz .LBB0_5
; %bb.4:                                ;   in Loop: Header=BB0_3 Depth=1
	.loc	1 78 30                         ; triton_scaled_mm_aot.py:78:30
	v_add_co_u32_e64 v60, s[8:9], v44, v58
	v_addc_co_u32_e64 v61, s[8:9], v45, v59, s[8:9]
	.loc	1 80 20                         ; triton_scaled_mm_aot.py:80:20
	global_load_ubyte v74, v[60:61], off
.LBB0_5:                                ;   in Loop: Header=BB0_3 Depth=1
	.loc	1 0 20 is_stmt 0                ; triton_scaled_mm_aot.py:0:20
	s_or_b64 exec, exec, s[40:41]
	.loc	1 79 38 is_stmt 1               ; triton_scaled_mm_aot.py:79:38
	s_and_b64 s[8:9], s[0:1], s[6:7]
	.loc	1 80 20                         ; triton_scaled_mm_aot.py:80:20
	s_and_saveexec_b64 s[40:41], s[8:9]
	s_cbranch_execz .LBB0_7
; %bb.6:                                ;   in Loop: Header=BB0_3 Depth=1
	.loc	1 78 30                         ; triton_scaled_mm_aot.py:78:30
	v_add_co_u32_e64 v60, s[8:9], v42, v58
	v_addc_co_u32_e64 v61, s[8:9], v43, v59, s[8:9]
	.loc	1 80 20                         ; triton_scaled_mm_aot.py:80:20
	global_load_ubyte v73, v[60:61], off
.LBB0_7:                                ;   in Loop: Header=BB0_3 Depth=1
	.loc	1 0 20 is_stmt 0                ; triton_scaled_mm_aot.py:0:20
	s_or_b64 exec, exec, s[40:41]
	.loc	1 79 38 is_stmt 1               ; triton_scaled_mm_aot.py:79:38
	s_and_b64 s[8:9], s[2:3], s[6:7]
	v_mov_b32_e32 v75, 0
	v_mov_b32_e32 v76, 0
	.loc	1 80 20                         ; triton_scaled_mm_aot.py:80:20
	s_and_saveexec_b64 s[40:41], s[8:9]
	s_cbranch_execz .LBB0_9
; %bb.8:                                ;   in Loop: Header=BB0_3 Depth=1
	.loc	1 78 30                         ; triton_scaled_mm_aot.py:78:30
	v_add_co_u32_e64 v60, s[8:9], v40, v58
	v_addc_co_u32_e64 v61, s[8:9], v41, v59, s[8:9]
	.loc	1 80 20                         ; triton_scaled_mm_aot.py:80:20
	global_load_ubyte v76, v[60:61], off
.LBB0_9:                                ;   in Loop: Header=BB0_3 Depth=1
	.loc	1 0 20 is_stmt 0                ; triton_scaled_mm_aot.py:0:20
	s_or_b64 exec, exec, s[40:41]
	.loc	1 79 38 is_stmt 1               ; triton_scaled_mm_aot.py:79:38
	s_and_b64 s[8:9], s[24:25], s[6:7]
	.loc	1 80 20                         ; triton_scaled_mm_aot.py:80:20
	s_and_saveexec_b64 s[40:41], s[8:9]
	s_cbranch_execz .LBB0_11
; %bb.10:                               ;   in Loop: Header=BB0_3 Depth=1
	.loc	1 78 30                         ; triton_scaled_mm_aot.py:78:30
	v_add_co_u32_e64 v60, s[8:9], v38, v58
	v_addc_co_u32_e64 v61, s[8:9], v39, v59, s[8:9]
	.loc	1 80 20                         ; triton_scaled_mm_aot.py:80:20
	global_load_ubyte v75, v[60:61], off
.LBB0_11:                               ;   in Loop: Header=BB0_3 Depth=1
	.loc	1 0 20 is_stmt 0                ; triton_scaled_mm_aot.py:0:20
	s_or_b64 exec, exec, s[40:41]
	.loc	1 79 38 is_stmt 1               ; triton_scaled_mm_aot.py:79:38
	s_and_b64 s[8:9], s[26:27], s[6:7]
	v_mov_b32_e32 v77, 0
	v_mov_b32_e32 v78, 0
	.loc	1 80 20                         ; triton_scaled_mm_aot.py:80:20
	s_and_saveexec_b64 s[40:41], s[8:9]
	s_cbranch_execz .LBB0_13
; %bb.12:                               ;   in Loop: Header=BB0_3 Depth=1
	.loc	1 78 30                         ; triton_scaled_mm_aot.py:78:30
	v_add_co_u32_e64 v60, s[8:9], v36, v58
	v_addc_co_u32_e64 v61, s[8:9], v37, v59, s[8:9]
	.loc	1 80 20                         ; triton_scaled_mm_aot.py:80:20
	global_load_ubyte v78, v[60:61], off
.LBB0_13:                               ;   in Loop: Header=BB0_3 Depth=1
	.loc	1 0 20 is_stmt 0                ; triton_scaled_mm_aot.py:0:20
	s_or_b64 exec, exec, s[40:41]
	.loc	1 79 38 is_stmt 1               ; triton_scaled_mm_aot.py:79:38
	s_and_b64 s[8:9], s[16:17], s[6:7]
	.loc	1 80 20                         ; triton_scaled_mm_aot.py:80:20
	s_and_saveexec_b64 s[40:41], s[8:9]
	s_cbranch_execz .LBB0_15
; %bb.14:                               ;   in Loop: Header=BB0_3 Depth=1
	.loc	1 78 30                         ; triton_scaled_mm_aot.py:78:30
	v_add_co_u32_e64 v60, s[8:9], v34, v58
	v_addc_co_u32_e64 v61, s[8:9], v35, v59, s[8:9]
	.loc	1 80 20                         ; triton_scaled_mm_aot.py:80:20
	global_load_ubyte v77, v[60:61], off
.LBB0_15:                               ;   in Loop: Header=BB0_3 Depth=1
	.loc	1 0 20 is_stmt 0                ; triton_scaled_mm_aot.py:0:20
	s_or_b64 exec, exec, s[40:41]
	.loc	1 79 38 is_stmt 1               ; triton_scaled_mm_aot.py:79:38
	s_and_b64 s[8:9], s[18:19], s[6:7]
	v_mov_b32_e32 v79, 0
	v_mov_b32_e32 v80, 0
	.loc	1 80 20                         ; triton_scaled_mm_aot.py:80:20
	s_and_saveexec_b64 s[40:41], s[8:9]
	s_cbranch_execz .LBB0_17
; %bb.16:                               ;   in Loop: Header=BB0_3 Depth=1
	.loc	1 78 30                         ; triton_scaled_mm_aot.py:78:30
	v_add_co_u32_e64 v60, s[8:9], v32, v58
	v_addc_co_u32_e64 v61, s[8:9], v33, v59, s[8:9]
	.loc	1 80 20                         ; triton_scaled_mm_aot.py:80:20
	global_load_ubyte v80, v[60:61], off
.LBB0_17:                               ;   in Loop: Header=BB0_3 Depth=1
	.loc	1 0 20 is_stmt 0                ; triton_scaled_mm_aot.py:0:20
	s_or_b64 exec, exec, s[40:41]
	.loc	1 79 38 is_stmt 1               ; triton_scaled_mm_aot.py:79:38
	s_and_b64 s[6:7], s[20:21], s[6:7]
	.loc	1 80 20                         ; triton_scaled_mm_aot.py:80:20
	s_and_saveexec_b64 s[8:9], s[6:7]
	s_cbranch_execz .LBB0_19
; %bb.18:                               ;   in Loop: Header=BB0_3 Depth=1
	.loc	1 78 30                         ; triton_scaled_mm_aot.py:78:30
	v_add_co_u32_e64 v60, s[6:7], v30, v58
	v_addc_co_u32_e64 v61, s[6:7], v31, v59, s[6:7]
	.loc	1 80 20                         ; triton_scaled_mm_aot.py:80:20
	global_load_ubyte v79, v[60:61], off
.LBB0_19:                               ;   in Loop: Header=BB0_3 Depth=1
	.loc	1 0 20 is_stmt 0                ; triton_scaled_mm_aot.py:0:20
	s_or_b64 exec, exec, s[8:9]
	.loc	1 78 30 is_stmt 1               ; triton_scaled_mm_aot.py:78:30
	v_mov_b32_e32 v61, s29
	v_add_co_u32_e64 v60, s[6:7], s28, v18
	v_addc_co_u32_e64 v61, s[6:7], 0, v61, s[6:7]
	v_cmp_gt_i64_e64 s[6:7], s[30:31], v[60:61]
	.loc	1 82 37                         ; triton_scaled_mm_aot.py:82:37
	s_and_b64 s[6:7], s[22:23], s[6:7]
	v_mov_b32_e32 v81, 0
	v_mov_b32_e32 v82, 0
	.loc	1 83 20                         ; triton_scaled_mm_aot.py:83:20
	s_and_saveexec_b64 s[8:9], s[6:7]
	s_cbranch_execz .LBB0_21
; %bb.20:                               ;   in Loop: Header=BB0_3 Depth=1
	.loc	1 78 30                         ; triton_scaled_mm_aot.py:78:30
	v_add_co_u32_e64 v82, s[6:7], v24, v56
	v_addc_co_u32_e64 v83, s[6:7], v25, v57, s[6:7]
	.loc	1 83 20                         ; triton_scaled_mm_aot.py:83:20
	global_load_ubyte v82, v[82:83], off
.LBB0_21:                               ;   in Loop: Header=BB0_3 Depth=1
	.loc	1 0 20 is_stmt 0                ; triton_scaled_mm_aot.py:0:20
	s_or_b64 exec, exec, s[8:9]
	.loc	1 78 30 is_stmt 1               ; triton_scaled_mm_aot.py:78:30
	v_add_co_u32_e64 v84, s[6:7], 4, v60
	v_addc_co_u32_e64 v85, s[6:7], 0, v61, s[6:7]
	v_cmp_gt_i64_e64 s[6:7], s[30:31], v[84:85]
	.loc	1 82 37                         ; triton_scaled_mm_aot.py:82:37
	s_and_b64 s[6:7], s[22:23], s[6:7]
	.loc	1 83 20                         ; triton_scaled_mm_aot.py:83:20
	s_and_saveexec_b64 s[8:9], s[6:7]
	s_cbranch_execz .LBB0_23
; %bb.22:                               ;   in Loop: Header=BB0_3 Depth=1
	.loc	1 78 30                         ; triton_scaled_mm_aot.py:78:30
	v_add_co_u32_e64 v84, s[6:7], v24, v48
	v_addc_co_u32_e64 v85, s[6:7], v25, v49, s[6:7]
	.loc	1 83 20                         ; triton_scaled_mm_aot.py:83:20
	global_load_ubyte v81, v[84:85], off
.LBB0_23:                               ;   in Loop: Header=BB0_3 Depth=1
	.loc	1 0 20 is_stmt 0                ; triton_scaled_mm_aot.py:0:20
	s_or_b64 exec, exec, s[8:9]
	.loc	1 78 30 is_stmt 1               ; triton_scaled_mm_aot.py:78:30
	v_add_co_u32_e64 v84, s[6:7], 8, v60
	v_addc_co_u32_e64 v85, s[6:7], 0, v61, s[6:7]
	v_cmp_gt_i64_e64 s[6:7], s[30:31], v[84:85]
	.loc	1 82 37                         ; triton_scaled_mm_aot.py:82:37
	s_and_b64 s[6:7], s[22:23], s[6:7]
	v_mov_b32_e32 v83, 0
	v_mov_b32_e32 v84, 0
	.loc	1 83 20                         ; triton_scaled_mm_aot.py:83:20
	s_and_saveexec_b64 s[8:9], s[6:7]
	s_cbranch_execz .LBB0_25
; %bb.24:                               ;   in Loop: Header=BB0_3 Depth=1
	.loc	1 78 30                         ; triton_scaled_mm_aot.py:78:30
	v_add_co_u32_e64 v84, s[6:7], v24, v46
	v_addc_co_u32_e64 v85, s[6:7], v25, v47, s[6:7]
	.loc	1 83 20                         ; triton_scaled_mm_aot.py:83:20
	global_load_ubyte v84, v[84:85], off
.LBB0_25:                               ;   in Loop: Header=BB0_3 Depth=1
	.loc	1 0 20 is_stmt 0                ; triton_scaled_mm_aot.py:0:20
	s_or_b64 exec, exec, s[8:9]
	.loc	1 78 30 is_stmt 1               ; triton_scaled_mm_aot.py:78:30
	v_mov_b32_e32 v85, s29
	v_add_co_u32_e64 v86, s[6:7], s28, v52
	v_addc_co_u32_e64 v87, s[6:7], 0, v85, s[6:7]
	v_cmp_gt_i64_e64 s[6:7], s[30:31], v[86:87]
	.loc	1 82 37                         ; triton_scaled_mm_aot.py:82:37
	s_and_b64 s[6:7], s[22:23], s[6:7]
	.loc	1 83 20                         ; triton_scaled_mm_aot.py:83:20
	s_and_saveexec_b64 s[8:9], s[6:7]
	s_cbranch_execz .LBB0_27
; %bb.26:                               ;   in Loop: Header=BB0_3 Depth=1
	.loc	1 78 30                         ; triton_scaled_mm_aot.py:78:30
	v_add_co_u32_e64 v86, s[6:7], v24, v54
	v_addc_co_u32_e64 v87, s[6:7], v25, v55, s[6:7]
	.loc	1 83 20                         ; triton_scaled_mm_aot.py:83:20
	global_load_ubyte v83, v[86:87], off
.LBB0_27:                               ;   in Loop: Header=BB0_3 Depth=1
	.loc	1 0 20 is_stmt 0                ; triton_scaled_mm_aot.py:0:20
	s_or_b64 exec, exec, s[8:9]
	.loc	1 78 30 is_stmt 1               ; triton_scaled_mm_aot.py:78:30
	v_add_co_u32_e64 v86, s[6:7], 16, v60
	v_addc_co_u32_e64 v87, s[6:7], 0, v61, s[6:7]
	v_cmp_gt_i64_e64 s[6:7], s[30:31], v[86:87]
	.loc	1 82 37                         ; triton_scaled_mm_aot.py:82:37
	s_and_b64 s[6:7], s[22:23], s[6:7]
	v_mov_b32_e32 v85, 0
	v_mov_b32_e32 v86, 0
	.loc	1 83 20                         ; triton_scaled_mm_aot.py:83:20
	s_and_saveexec_b64 s[8:9], s[6:7]
	s_cbranch_execz .LBB0_29
; %bb.28:                               ;   in Loop: Header=BB0_3 Depth=1
	.loc	1 78 30                         ; triton_scaled_mm_aot.py:78:30
	v_add_co_u32_e64 v86, s[6:7], v24, v0
	v_addc_co_u32_e64 v87, s[6:7], v25, v1, s[6:7]
	.loc	1 83 20                         ; triton_scaled_mm_aot.py:83:20
	global_load_ubyte v86, v[86:87], off
.LBB0_29:                               ;   in Loop: Header=BB0_3 Depth=1
	.loc	1 0 20 is_stmt 0                ; triton_scaled_mm_aot.py:0:20
	s_or_b64 exec, exec, s[8:9]
	.loc	1 78 30 is_stmt 1               ; triton_scaled_mm_aot.py:78:30
	v_add_co_u32_e64 v88, s[6:7], 20, v60
	v_addc_co_u32_e64 v89, s[6:7], 0, v61, s[6:7]
	v_cmp_gt_i64_e64 s[6:7], s[30:31], v[88:89]
	.loc	1 82 37                         ; triton_scaled_mm_aot.py:82:37
	s_and_b64 s[6:7], s[22:23], s[6:7]
	.loc	1 83 20                         ; triton_scaled_mm_aot.py:83:20
	s_and_saveexec_b64 s[8:9], s[6:7]
	s_cbranch_execz .LBB0_31
; %bb.30:                               ;   in Loop: Header=BB0_3 Depth=1
	.loc	1 78 30                         ; triton_scaled_mm_aot.py:78:30
	v_add_co_u32_e64 v88, s[6:7], v24, v28
	v_addc_co_u32_e64 v89, s[6:7], v25, v29, s[6:7]
	.loc	1 83 20                         ; triton_scaled_mm_aot.py:83:20
	global_load_ubyte v85, v[88:89], off
.LBB0_31:                               ;   in Loop: Header=BB0_3 Depth=1
	.loc	1 0 20 is_stmt 0                ; triton_scaled_mm_aot.py:0:20
	s_or_b64 exec, exec, s[8:9]
	.loc	1 78 30 is_stmt 1               ; triton_scaled_mm_aot.py:78:30
	v_add_co_u32_e64 v60, s[6:7], 24, v60
	v_addc_co_u32_e64 v61, s[6:7], 0, v61, s[6:7]
	v_cmp_gt_i64_e64 s[6:7], s[30:31], v[60:61]
	.loc	1 82 37                         ; triton_scaled_mm_aot.py:82:37
	s_and_b64 s[6:7], s[22:23], s[6:7]
	v_mov_b32_e32 v60, 0
	v_mov_b32_e32 v61, 0
	.loc	1 83 20                         ; triton_scaled_mm_aot.py:83:20
	s_and_saveexec_b64 s[8:9], s[6:7]
	s_cbranch_execz .LBB0_33
; %bb.32:                               ;   in Loop: Header=BB0_3 Depth=1
	.loc	1 78 30                         ; triton_scaled_mm_aot.py:78:30
	v_add_co_u32_e64 v88, s[6:7], v24, v26
	v_addc_co_u32_e64 v89, s[6:7], v25, v27, s[6:7]
	.loc	1 83 20                         ; triton_scaled_mm_aot.py:83:20
	global_load_ubyte v61, v[88:89], off
.LBB0_33:                               ;   in Loop: Header=BB0_3 Depth=1
	.loc	1 0 20 is_stmt 0                ; triton_scaled_mm_aot.py:0:20
	s_or_b64 exec, exec, s[8:9]
	.loc	1 78 30 is_stmt 1               ; triton_scaled_mm_aot.py:78:30
	v_mov_b32_e32 v87, s29
	v_add_co_u32_e64 v88, s[6:7], s28, v20
	v_addc_co_u32_e64 v89, s[6:7], 0, v87, s[6:7]
	v_cmp_gt_i64_e64 s[6:7], s[30:31], v[88:89]
	.loc	1 82 37                         ; triton_scaled_mm_aot.py:82:37
	s_and_b64 s[6:7], s[22:23], s[6:7]
	.loc	1 83 20                         ; triton_scaled_mm_aot.py:83:20
	s_and_saveexec_b64 s[8:9], s[6:7]
	s_cbranch_execz .LBB0_2
; %bb.34:                               ;   in Loop: Header=BB0_3 Depth=1
	.loc	1 78 30                         ; triton_scaled_mm_aot.py:78:30
	v_add_co_u32_e64 v88, s[6:7], v24, v50
	v_addc_co_u32_e64 v89, s[6:7], v25, v51, s[6:7]
	.loc	1 83 20                         ; triton_scaled_mm_aot.py:83:20
	global_load_ubyte v60, v[88:89], off
	s_branch .LBB0_2
.LBB0_35:                               ; %._crit_edge.loopexit
	.loc	1 99 43                         ; triton_scaled_mm_aot.py:99:43
	s_nop 1
	v_cvt_f32_i32_e32 v2, v2
	v_cvt_f32_i32_e32 v3, v3
	;; [unrolled: 1-line block ×16, first 2 shown]
.LBB0_36:                               ; %Flow188
	.loc	1 0 43 is_stmt 0                ; triton_scaled_mm_aot.py:0:43
	s_load_dwordx2 s[40:41], s[4:5], 0x4c
	.loc	1 63 40 is_stmt 1               ; triton_scaled_mm_aot.py:63:40
	s_cmp_lt_i32 s38, 1
	.loc	1 99 28                         ; triton_scaled_mm_aot.py:99:28
	v_mov_b32_e32 v36, 0
	.loc	1 94 45                         ; triton_scaled_mm_aot.py:94:45
	s_cbranch_scc1 .LBB0_106
; %bb.37:
	v_mov_b32_e32 v0, 0
	global_load_dword v0, v0, s[10:11]
	s_waitcnt vmcnt(0)
	v_mov_b32_e32 v1, v0
	.loc	1 69 40                         ; triton_scaled_mm_aot.py:69:40
	s_cmp_lt_i32 s39, 1
	.loc	1 102 45                        ; triton_scaled_mm_aot.py:102:45
	s_cbranch_scc1 .LBB0_39
.LBB0_38:
	v_mov_b32_e32 v18, 0
	global_load_dword v36, v18, s[12:13]
.LBB0_39:
	.loc	1 99 28                         ; triton_scaled_mm_aot.py:99:28
	v_pk_mul_f32 v[38:39], v[0:1], v[2:3]
	.loc	1 104 30                        ; triton_scaled_mm_aot.py:104:30
	s_waitcnt vmcnt(0)
	v_mov_b32_e32 v37, v36
	.loc	1 99 28                         ; triton_scaled_mm_aot.py:99:28
	v_pk_mul_f32 v[44:45], v[0:1], v[8:9]
	.loc	1 104 30                        ; triton_scaled_mm_aot.py:104:30
	v_pk_mul_f32 v[38:39], v[38:39], v[36:37]
	v_pk_mul_f32 v[58:59], v[44:45], v[36:37]
	.loc	1 107 23                        ; triton_scaled_mm_aot.py:107:23
	v_cvt_f16_f32_e32 v20, v39
	v_cvt_f16_f32_e32 v44, v38
	.loc	1 99 28                         ; triton_scaled_mm_aot.py:99:28
	v_pk_mul_f32 v[40:41], v[0:1], v[4:5]
	v_pk_mul_f32 v[42:43], v[0:1], v[6:7]
	.loc	1 104 30                        ; triton_scaled_mm_aot.py:104:30
	v_pk_mul_f32 v[40:41], v[40:41], v[36:37]
	v_pk_mul_f32 v[42:43], v[42:43], v[36:37]
	.loc	1 107 23                        ; triton_scaled_mm_aot.py:107:23
	v_pack_b32_f16 v45, v44, v20
	v_cvt_f16_f32_e32 v20, v41
	v_cvt_f16_f32_e32 v40, v40
	;; [unrolled: 1-line block ×6, first 2 shown]
	.loc	1 99 28                         ; triton_scaled_mm_aot.py:99:28
	v_pk_mul_f32 v[48:49], v[0:1], v[10:11]
	v_pk_mul_f32 v[50:51], v[0:1], v[12:13]
	;; [unrolled: 1-line block ×4, first 2 shown]
	.loc	1 104 30                        ; triton_scaled_mm_aot.py:104:30
	v_pk_mul_f32 v[48:49], v[48:49], v[36:37]
	v_pk_mul_f32 v[38:39], v[50:51], v[36:37]
	;; [unrolled: 1-line block ×4, first 2 shown]
	.loc	1 107 23                        ; triton_scaled_mm_aot.py:107:23
	v_cvt_f16_f32_e32 v49, v49
	v_cvt_f16_f32_e32 v48, v48
	v_pack_b32_f16 v44, v40, v20
	v_pack_b32_f16 v43, v42, v41
	;; [unrolled: 1-line block ×3, first 2 shown]
	v_cvt_f16_f32_e32 v20, v39
	v_cvt_f16_f32_e32 v38, v38
	;; [unrolled: 1-line block ×6, first 2 shown]
	.loc	1 46 53                         ; triton_scaled_mm_aot.py:46:53
	v_or_b32_e32 v47, v63, v64
	v_or_b32_e32 v18, v47, v62
	.loc	1 49 40                         ; triton_scaled_mm_aot.py:49:40
	v_or_b32_e32 v34, 1, v18
	v_mov_b32_e32 v35, v19
	v_or_b32_e32 v32, 2, v18
	v_mov_b32_e32 v33, v19
	;; [unrolled: 2-line block ×15, first 2 shown]
	.loc	1 50 28                         ; triton_scaled_mm_aot.py:50:28
	v_cmp_gt_i64_e64 s[30:31], s[34:35], v[18:19]
	v_cmp_gt_i64_e64 s[28:29], s[34:35], v[34:35]
	;; [unrolled: 1-line block ×15, first 2 shown]
	v_cmp_gt_i64_e32 vcc, s[34:35], v[0:1]
	.loc	1 107 23                        ; triton_scaled_mm_aot.py:107:23
	v_pack_b32_f16 v41, v48, v49
	v_pack_b32_f16 v40, v38, v20
	;; [unrolled: 1-line block ×3, first 2 shown]
	.loc	1 110 7                         ; triton_scaled_mm_aot.py:110:7
	s_cmp_eq_u64 s[36:37], 0
	.loc	1 107 23                        ; triton_scaled_mm_aot.py:107:23
	v_pack_b32_f16 v38, v36, v37
	.loc	1 110 7                         ; triton_scaled_mm_aot.py:110:7
	s_cbranch_scc1 .LBB0_73
; %bb.40:
	.loc	1 114 34                        ; triton_scaled_mm_aot.py:114:34
	v_mov_b32_e32 v20, 0
	v_mov_b32_e32 v46, v20
	s_and_saveexec_b64 s[38:39], s[30:31]
	s_cbranch_execz .LBB0_42
; %bb.41:
	.loc	1 0 34 is_stmt 0                ; triton_scaled_mm_aot.py:0:34
	v_lshlrev_b64 v[36:37], 1, v[18:19]
	v_mov_b32_e32 v46, s37
	v_add_co_u32_e64 v36, s[34:35], s36, v36
	v_addc_co_u32_e64 v37, s[34:35], v46, v37, s[34:35]
	.loc	1 114 34                        ; triton_scaled_mm_aot.py:114:34
	global_load_ushort v46, v[36:37], off
.LBB0_42:
	.loc	1 0 34                          ; triton_scaled_mm_aot.py:0:34
	s_or_b64 exec, exec, s[38:39]
	v_add_co_u32_e64 v36, s[34:35], v62, v47
	v_addc_co_u32_e64 v37, s[34:35], 0, v19, s[34:35]
	.loc	1 112 31 is_stmt 1              ; triton_scaled_mm_aot.py:112:31
	v_lshlrev_b64 v[36:37], 1, v[36:37]
	v_mov_b32_e32 v47, s37
	v_add_co_u32_e64 v36, s[34:35], s36, v36
	v_addc_co_u32_e64 v37, s[34:35], v47, v37, s[34:35]
	.loc	1 114 34                        ; triton_scaled_mm_aot.py:114:34
	s_and_saveexec_b64 s[34:35], s[28:29]
	s_cbranch_execz .LBB0_44
; %bb.43:
	global_load_ushort v20, v[36:37], off offset:2
.LBB0_44:
	.loc	1 0 34 is_stmt 0                ; triton_scaled_mm_aot.py:0:34
	s_or_b64 exec, exec, s[34:35]
	.loc	1 114 34                        ; triton_scaled_mm_aot.py:114:34
	v_mov_b32_e32 v47, 0
	v_mov_b32_e32 v48, v47
	s_and_saveexec_b64 s[34:35], s[26:27]
	s_cbranch_execz .LBB0_46
; %bb.45:
	global_load_ushort v48, v[36:37], off offset:4
.LBB0_46:
	.loc	1 0 34                          ; triton_scaled_mm_aot.py:0:34
	s_or_b64 exec, exec, s[34:35]
	.loc	1 114 34                        ; triton_scaled_mm_aot.py:114:34
	s_and_saveexec_b64 s[34:35], s[24:25]
	s_cbranch_execz .LBB0_48
; %bb.47:
	global_load_ushort v47, v[36:37], off offset:6
.LBB0_48:
	.loc	1 0 34                          ; triton_scaled_mm_aot.py:0:34
	s_or_b64 exec, exec, s[34:35]
	.loc	1 114 34                        ; triton_scaled_mm_aot.py:114:34
	v_mov_b32_e32 v49, 0
	v_mov_b32_e32 v50, v49
	s_and_saveexec_b64 s[34:35], s[22:23]
	s_cbranch_execz .LBB0_50
; %bb.49:
	global_load_ushort v50, v[36:37], off offset:16
.LBB0_50:
	.loc	1 0 34                          ; triton_scaled_mm_aot.py:0:34
	s_or_b64 exec, exec, s[34:35]
	.loc	1 114 34                        ; triton_scaled_mm_aot.py:114:34
	s_and_saveexec_b64 s[34:35], s[20:21]
	s_cbranch_execz .LBB0_52
; %bb.51:
	global_load_ushort v49, v[36:37], off offset:18
.LBB0_52:
	.loc	1 0 34                          ; triton_scaled_mm_aot.py:0:34
	;; [unrolled: 18-line block ×6, first 2 shown]
	s_or_b64 exec, exec, s[34:35]
	.loc	1 114 34                        ; triton_scaled_mm_aot.py:114:34
	v_mov_b32_e32 v60, 0
	v_mov_b32_e32 v61, v60
	s_and_saveexec_b64 s[34:35], s[0:1]
	s_cbranch_execz .LBB0_70
; %bb.69:
	global_load_ushort v61, v[36:37], off offset:52
.LBB0_70:
	.loc	1 0 34                          ; triton_scaled_mm_aot.py:0:34
	s_or_b64 exec, exec, s[34:35]
	.loc	1 114 34                        ; triton_scaled_mm_aot.py:114:34
	s_and_saveexec_b64 s[34:35], vcc
	s_cbranch_execz .LBB0_72
; %bb.71:
	global_load_ushort v60, v[36:37], off offset:54
.LBB0_72:
	.loc	1 0 34                          ; triton_scaled_mm_aot.py:0:34
	s_or_b64 exec, exec, s[34:35]
	.loc	1 115 13 is_stmt 1              ; triton_scaled_mm_aot.py:115:13
	s_mov_b32 s33, 0x5040100
	s_waitcnt vmcnt(0)
	v_perm_b32 v20, v20, v46, s33
	v_pk_add_f16 v45, v20, v45
	v_perm_b32 v20, v47, v48, s33
	v_pk_add_f16 v44, v20, v44
	;; [unrolled: 2-line block ×8, first 2 shown]
.LBB0_73:
	.loc	1 46 53                         ; triton_scaled_mm_aot.py:46:53
	v_lshrrev_b32_e32 v20, 2, v53
	.loc	1 46 40 is_stmt 0               ; triton_scaled_mm_aot.py:46:40
	v_or3_b32 v20, v20, v22, v23
	.loc	1 122 33 is_stmt 1              ; triton_scaled_mm_aot.py:122:33
	s_waitcnt lgkmcnt(0)
	v_mad_i64_i32 v[22:23], s[34:35], v20, s40, 0
	.loc	1 122 21 is_stmt 0              ; triton_scaled_mm_aot.py:122:21
	v_lshlrev_b64 v[22:23], 1, v[22:23]
	v_mov_b32_e32 v36, s15
	v_add_co_u32_e64 v22, s[14:15], s14, v22
	v_addc_co_u32_e64 v23, s[14:15], v36, v23, s[14:15]
	.loc	1 123 33 is_stmt 1              ; triton_scaled_mm_aot.py:123:33
	v_cmp_gt_i64_e64 s[14:15], s[44:45], v[20:21]
	.loc	1 122 64                        ; triton_scaled_mm_aot.py:122:64
	s_ashr_i32 s33, s41, 31
	.loc	1 123 39                        ; triton_scaled_mm_aot.py:123:39
	s_and_b64 s[30:31], s[14:15], s[30:31]
	.loc	1 125 21                        ; triton_scaled_mm_aot.py:125:21
	s_and_saveexec_b64 s[34:35], s[30:31]
	s_cbranch_execnz .LBB0_90
; %bb.74:
	.loc	1 0 21 is_stmt 0                ; triton_scaled_mm_aot.py:0:21
	s_or_b64 exec, exec, s[34:35]
	.loc	1 123 39 is_stmt 1              ; triton_scaled_mm_aot.py:123:39
	s_and_b64 s[28:29], s[14:15], s[28:29]
	.loc	1 125 21                        ; triton_scaled_mm_aot.py:125:21
	s_and_saveexec_b64 s[30:31], s[28:29]
	s_cbranch_execnz .LBB0_91
.LBB0_75:
	.loc	1 0 21 is_stmt 0                ; triton_scaled_mm_aot.py:0:21
	s_or_b64 exec, exec, s[30:31]
	.loc	1 123 39 is_stmt 1              ; triton_scaled_mm_aot.py:123:39
	s_and_b64 s[26:27], s[14:15], s[26:27]
	.loc	1 125 21                        ; triton_scaled_mm_aot.py:125:21
	s_and_saveexec_b64 s[28:29], s[26:27]
	s_cbranch_execnz .LBB0_92
.LBB0_76:
	.loc	1 0 21 is_stmt 0                ; triton_scaled_mm_aot.py:0:21
	s_or_b64 exec, exec, s[28:29]
	.loc	1 123 39 is_stmt 1              ; triton_scaled_mm_aot.py:123:39
	s_and_b64 s[24:25], s[14:15], s[24:25]
	.loc	1 125 21                        ; triton_scaled_mm_aot.py:125:21
	s_and_saveexec_b64 s[26:27], s[24:25]
	s_cbranch_execnz .LBB0_93
.LBB0_77:
	.loc	1 0 21 is_stmt 0                ; triton_scaled_mm_aot.py:0:21
	s_or_b64 exec, exec, s[26:27]
	.loc	1 123 39 is_stmt 1              ; triton_scaled_mm_aot.py:123:39
	s_and_b64 s[22:23], s[14:15], s[22:23]
	.loc	1 125 21                        ; triton_scaled_mm_aot.py:125:21
	s_and_saveexec_b64 s[24:25], s[22:23]
	s_cbranch_execnz .LBB0_94
.LBB0_78:
	.loc	1 0 21 is_stmt 0                ; triton_scaled_mm_aot.py:0:21
	s_or_b64 exec, exec, s[24:25]
	.loc	1 123 39 is_stmt 1              ; triton_scaled_mm_aot.py:123:39
	s_and_b64 s[20:21], s[14:15], s[20:21]
	.loc	1 125 21                        ; triton_scaled_mm_aot.py:125:21
	s_and_saveexec_b64 s[22:23], s[20:21]
	s_cbranch_execnz .LBB0_95
.LBB0_79:
	.loc	1 0 21 is_stmt 0                ; triton_scaled_mm_aot.py:0:21
	s_or_b64 exec, exec, s[22:23]
	.loc	1 123 39 is_stmt 1              ; triton_scaled_mm_aot.py:123:39
	s_and_b64 s[18:19], s[14:15], s[18:19]
	.loc	1 125 21                        ; triton_scaled_mm_aot.py:125:21
	s_and_saveexec_b64 s[20:21], s[18:19]
	s_cbranch_execnz .LBB0_96
.LBB0_80:
	.loc	1 0 21 is_stmt 0                ; triton_scaled_mm_aot.py:0:21
	s_or_b64 exec, exec, s[20:21]
	.loc	1 123 39 is_stmt 1              ; triton_scaled_mm_aot.py:123:39
	s_and_b64 s[16:17], s[14:15], s[16:17]
	.loc	1 125 21                        ; triton_scaled_mm_aot.py:125:21
	s_and_saveexec_b64 s[18:19], s[16:17]
	s_cbranch_execnz .LBB0_97
.LBB0_81:
	.loc	1 0 21 is_stmt 0                ; triton_scaled_mm_aot.py:0:21
	s_or_b64 exec, exec, s[18:19]
	.loc	1 123 39 is_stmt 1              ; triton_scaled_mm_aot.py:123:39
	s_and_b64 s[12:13], s[14:15], s[12:13]
	.loc	1 125 21                        ; triton_scaled_mm_aot.py:125:21
	s_and_saveexec_b64 s[16:17], s[12:13]
	s_cbranch_execnz .LBB0_98
.LBB0_82:
	.loc	1 0 21 is_stmt 0                ; triton_scaled_mm_aot.py:0:21
	s_or_b64 exec, exec, s[16:17]
	.loc	1 123 39 is_stmt 1              ; triton_scaled_mm_aot.py:123:39
	s_and_b64 s[10:11], s[14:15], s[10:11]
	.loc	1 125 21                        ; triton_scaled_mm_aot.py:125:21
	s_and_saveexec_b64 s[12:13], s[10:11]
	s_cbranch_execnz .LBB0_99
.LBB0_83:
	.loc	1 0 21 is_stmt 0                ; triton_scaled_mm_aot.py:0:21
	s_or_b64 exec, exec, s[12:13]
	.loc	1 123 39 is_stmt 1              ; triton_scaled_mm_aot.py:123:39
	s_and_b64 s[8:9], s[14:15], s[8:9]
	.loc	1 125 21                        ; triton_scaled_mm_aot.py:125:21
	s_and_saveexec_b64 s[10:11], s[8:9]
	s_cbranch_execnz .LBB0_100
.LBB0_84:
	.loc	1 0 21 is_stmt 0                ; triton_scaled_mm_aot.py:0:21
	s_or_b64 exec, exec, s[10:11]
	.loc	1 123 39 is_stmt 1              ; triton_scaled_mm_aot.py:123:39
	s_and_b64 s[6:7], s[14:15], s[6:7]
	.loc	1 125 21                        ; triton_scaled_mm_aot.py:125:21
	s_and_saveexec_b64 s[8:9], s[6:7]
	s_cbranch_execnz .LBB0_101
.LBB0_85:
	.loc	1 0 21 is_stmt 0                ; triton_scaled_mm_aot.py:0:21
	s_or_b64 exec, exec, s[8:9]
	.loc	1 123 39 is_stmt 1              ; triton_scaled_mm_aot.py:123:39
	s_and_b64 s[4:5], s[14:15], s[4:5]
	.loc	1 125 21                        ; triton_scaled_mm_aot.py:125:21
	s_and_saveexec_b64 s[6:7], s[4:5]
	s_cbranch_execnz .LBB0_102
.LBB0_86:
	.loc	1 0 21 is_stmt 0                ; triton_scaled_mm_aot.py:0:21
	s_or_b64 exec, exec, s[6:7]
	.loc	1 123 39 is_stmt 1              ; triton_scaled_mm_aot.py:123:39
	s_and_b64 s[2:3], s[14:15], s[2:3]
	.loc	1 125 21                        ; triton_scaled_mm_aot.py:125:21
	s_and_saveexec_b64 s[4:5], s[2:3]
	s_cbranch_execnz .LBB0_103
.LBB0_87:
	.loc	1 0 21 is_stmt 0                ; triton_scaled_mm_aot.py:0:21
	s_or_b64 exec, exec, s[4:5]
	.loc	1 123 39 is_stmt 1              ; triton_scaled_mm_aot.py:123:39
	s_and_b64 s[0:1], s[14:15], s[0:1]
	.loc	1 125 21                        ; triton_scaled_mm_aot.py:125:21
	s_and_saveexec_b64 s[2:3], s[0:1]
	s_cbranch_execnz .LBB0_104
.LBB0_88:
	.loc	1 0 21 is_stmt 0                ; triton_scaled_mm_aot.py:0:21
	s_or_b64 exec, exec, s[2:3]
	.loc	1 123 39 is_stmt 1              ; triton_scaled_mm_aot.py:123:39
	s_and_b64 s[0:1], s[14:15], vcc
	.loc	1 125 21                        ; triton_scaled_mm_aot.py:125:21
	s_and_saveexec_b64 s[2:3], s[0:1]
	s_cbranch_execnz .LBB0_105
.LBB0_89:
	.loc	1 125 4 is_stmt 0               ; triton_scaled_mm_aot.py:125:4
	s_endpgm
.LBB0_90:
	.loc	1 122 64 is_stmt 1              ; triton_scaled_mm_aot.py:122:64
	v_mul_lo_u32 v20, v19, s41
	v_mul_lo_u32 v21, v18, s33
	v_mad_u64_u32 v[18:19], s[30:31], v18, s41, 0
	v_add3_u32 v19, v19, v21, v20
	.loc	1 122 52 is_stmt 0              ; triton_scaled_mm_aot.py:122:52
	v_lshlrev_b64 v[18:19], 1, v[18:19]
	v_add_co_u32_e64 v18, s[30:31], v22, v18
	v_addc_co_u32_e64 v19, s[30:31], v23, v19, s[30:31]
	.loc	1 125 21 is_stmt 1              ; triton_scaled_mm_aot.py:125:21
	global_store_short v[18:19], v45, off
	s_or_b64 exec, exec, s[34:35]
	.loc	1 123 39                        ; triton_scaled_mm_aot.py:123:39
	s_and_b64 s[28:29], s[14:15], s[28:29]
	.loc	1 125 21                        ; triton_scaled_mm_aot.py:125:21
	s_and_saveexec_b64 s[30:31], s[28:29]
	s_cbranch_execz .LBB0_75
.LBB0_91:
	.loc	1 122 64                        ; triton_scaled_mm_aot.py:122:64
	v_mul_lo_u32 v20, v35, s41
	v_mul_lo_u32 v21, v34, s33
	v_mad_u64_u32 v[18:19], s[28:29], v34, s41, 0
	v_add3_u32 v19, v19, v21, v20
	.loc	1 122 52 is_stmt 0              ; triton_scaled_mm_aot.py:122:52
	v_lshlrev_b64 v[18:19], 1, v[18:19]
	v_add_co_u32_e64 v18, s[28:29], v22, v18
	v_addc_co_u32_e64 v19, s[28:29], v23, v19, s[28:29]
	.loc	1 125 21 is_stmt 1              ; triton_scaled_mm_aot.py:125:21
	global_store_short_d16_hi v[18:19], v45, off
	s_or_b64 exec, exec, s[30:31]
	.loc	1 123 39                        ; triton_scaled_mm_aot.py:123:39
	s_and_b64 s[26:27], s[14:15], s[26:27]
	.loc	1 125 21                        ; triton_scaled_mm_aot.py:125:21
	s_and_saveexec_b64 s[28:29], s[26:27]
	s_cbranch_execz .LBB0_76
.LBB0_92:
	.loc	1 122 64                        ; triton_scaled_mm_aot.py:122:64
	v_mul_lo_u32 v20, v33, s41
	v_mul_lo_u32 v21, v32, s33
	v_mad_u64_u32 v[18:19], s[26:27], v32, s41, 0
	v_add3_u32 v19, v19, v21, v20
	.loc	1 122 52 is_stmt 0              ; triton_scaled_mm_aot.py:122:52
	v_lshlrev_b64 v[18:19], 1, v[18:19]
	v_add_co_u32_e64 v18, s[26:27], v22, v18
	v_addc_co_u32_e64 v19, s[26:27], v23, v19, s[26:27]
	.loc	1 125 21 is_stmt 1              ; triton_scaled_mm_aot.py:125:21
	global_store_short v[18:19], v44, off
	s_or_b64 exec, exec, s[28:29]
	.loc	1 123 39                        ; triton_scaled_mm_aot.py:123:39
	s_and_b64 s[24:25], s[14:15], s[24:25]
	.loc	1 125 21                        ; triton_scaled_mm_aot.py:125:21
	s_and_saveexec_b64 s[26:27], s[24:25]
	s_cbranch_execz .LBB0_77
.LBB0_93:
	.loc	1 122 64                        ; triton_scaled_mm_aot.py:122:64
	v_mul_lo_u32 v20, v31, s41
	v_mul_lo_u32 v21, v30, s33
	v_mad_u64_u32 v[18:19], s[24:25], v30, s41, 0
	v_add3_u32 v19, v19, v21, v20
	.loc	1 122 52 is_stmt 0              ; triton_scaled_mm_aot.py:122:52
	v_lshlrev_b64 v[18:19], 1, v[18:19]
	v_add_co_u32_e64 v18, s[24:25], v22, v18
	v_addc_co_u32_e64 v19, s[24:25], v23, v19, s[24:25]
	.loc	1 125 21 is_stmt 1              ; triton_scaled_mm_aot.py:125:21
	global_store_short_d16_hi v[18:19], v44, off
	s_or_b64 exec, exec, s[26:27]
	.loc	1 123 39                        ; triton_scaled_mm_aot.py:123:39
	s_and_b64 s[22:23], s[14:15], s[22:23]
	.loc	1 125 21                        ; triton_scaled_mm_aot.py:125:21
	s_and_saveexec_b64 s[24:25], s[22:23]
	s_cbranch_execz .LBB0_78
.LBB0_94:
	.loc	1 122 64                        ; triton_scaled_mm_aot.py:122:64
	v_mul_lo_u32 v20, v29, s41
	v_mul_lo_u32 v21, v28, s33
	v_mad_u64_u32 v[18:19], s[22:23], v28, s41, 0
	v_add3_u32 v19, v19, v21, v20
	.loc	1 122 52 is_stmt 0              ; triton_scaled_mm_aot.py:122:52
	v_lshlrev_b64 v[18:19], 1, v[18:19]
	v_add_co_u32_e64 v18, s[22:23], v22, v18
	v_addc_co_u32_e64 v19, s[22:23], v23, v19, s[22:23]
	.loc	1 125 21 is_stmt 1              ; triton_scaled_mm_aot.py:125:21
	global_store_short v[18:19], v43, off
	s_or_b64 exec, exec, s[24:25]
	.loc	1 123 39                        ; triton_scaled_mm_aot.py:123:39
	s_and_b64 s[20:21], s[14:15], s[20:21]
	.loc	1 125 21                        ; triton_scaled_mm_aot.py:125:21
	s_and_saveexec_b64 s[22:23], s[20:21]
	s_cbranch_execz .LBB0_79
.LBB0_95:
	.loc	1 122 64                        ; triton_scaled_mm_aot.py:122:64
	v_mul_lo_u32 v20, v27, s41
	v_mul_lo_u32 v21, v26, s33
	v_mad_u64_u32 v[18:19], s[20:21], v26, s41, 0
	v_add3_u32 v19, v19, v21, v20
	.loc	1 122 52 is_stmt 0              ; triton_scaled_mm_aot.py:122:52
	v_lshlrev_b64 v[18:19], 1, v[18:19]
	v_add_co_u32_e64 v18, s[20:21], v22, v18
	v_addc_co_u32_e64 v19, s[20:21], v23, v19, s[20:21]
	.loc	1 125 21 is_stmt 1              ; triton_scaled_mm_aot.py:125:21
	global_store_short_d16_hi v[18:19], v43, off
	s_or_b64 exec, exec, s[22:23]
	.loc	1 123 39                        ; triton_scaled_mm_aot.py:123:39
	s_and_b64 s[18:19], s[14:15], s[18:19]
	.loc	1 125 21                        ; triton_scaled_mm_aot.py:125:21
	s_and_saveexec_b64 s[20:21], s[18:19]
	s_cbranch_execz .LBB0_80
.LBB0_96:
	.loc	1 122 64                        ; triton_scaled_mm_aot.py:122:64
	v_mul_lo_u32 v20, v25, s41
	v_mul_lo_u32 v21, v24, s33
	v_mad_u64_u32 v[18:19], s[18:19], v24, s41, 0
	v_add3_u32 v19, v19, v21, v20
	.loc	1 122 52 is_stmt 0              ; triton_scaled_mm_aot.py:122:52
	v_lshlrev_b64 v[18:19], 1, v[18:19]
	v_add_co_u32_e64 v18, s[18:19], v22, v18
	v_addc_co_u32_e64 v19, s[18:19], v23, v19, s[18:19]
	.loc	1 125 21 is_stmt 1              ; triton_scaled_mm_aot.py:125:21
	global_store_short v[18:19], v42, off
	s_or_b64 exec, exec, s[20:21]
	.loc	1 123 39                        ; triton_scaled_mm_aot.py:123:39
	s_and_b64 s[16:17], s[14:15], s[16:17]
	.loc	1 125 21                        ; triton_scaled_mm_aot.py:125:21
	s_and_saveexec_b64 s[18:19], s[16:17]
	s_cbranch_execz .LBB0_81
.LBB0_97:
	.loc	1 122 64                        ; triton_scaled_mm_aot.py:122:64
	v_mul_lo_u32 v18, v17, s41
	v_mul_lo_u32 v19, v16, s33
	v_mad_u64_u32 v[16:17], s[16:17], v16, s41, 0
	v_add3_u32 v17, v17, v19, v18
	.loc	1 122 52 is_stmt 0              ; triton_scaled_mm_aot.py:122:52
	v_lshlrev_b64 v[16:17], 1, v[16:17]
	v_add_co_u32_e64 v16, s[16:17], v22, v16
	v_addc_co_u32_e64 v17, s[16:17], v23, v17, s[16:17]
	.loc	1 125 21 is_stmt 1              ; triton_scaled_mm_aot.py:125:21
	global_store_short_d16_hi v[16:17], v42, off
	s_or_b64 exec, exec, s[18:19]
	.loc	1 123 39                        ; triton_scaled_mm_aot.py:123:39
	s_and_b64 s[12:13], s[14:15], s[12:13]
	.loc	1 125 21                        ; triton_scaled_mm_aot.py:125:21
	s_and_saveexec_b64 s[16:17], s[12:13]
	s_cbranch_execz .LBB0_82
.LBB0_98:
	.loc	1 122 64                        ; triton_scaled_mm_aot.py:122:64
	v_mul_lo_u32 v16, v15, s41
	v_mul_lo_u32 v17, v14, s33
	v_mad_u64_u32 v[14:15], s[12:13], v14, s41, 0
	v_add3_u32 v15, v15, v17, v16
	.loc	1 122 52 is_stmt 0              ; triton_scaled_mm_aot.py:122:52
	v_lshlrev_b64 v[14:15], 1, v[14:15]
	v_add_co_u32_e64 v14, s[12:13], v22, v14
	v_addc_co_u32_e64 v15, s[12:13], v23, v15, s[12:13]
	.loc	1 125 21 is_stmt 1              ; triton_scaled_mm_aot.py:125:21
	global_store_short v[14:15], v41, off
	s_or_b64 exec, exec, s[16:17]
	.loc	1 123 39                        ; triton_scaled_mm_aot.py:123:39
	s_and_b64 s[10:11], s[14:15], s[10:11]
	.loc	1 125 21                        ; triton_scaled_mm_aot.py:125:21
	s_and_saveexec_b64 s[12:13], s[10:11]
	s_cbranch_execz .LBB0_83
.LBB0_99:
	.loc	1 122 64                        ; triton_scaled_mm_aot.py:122:64
	v_mul_lo_u32 v14, v13, s41
	v_mul_lo_u32 v15, v12, s33
	v_mad_u64_u32 v[12:13], s[10:11], v12, s41, 0
	v_add3_u32 v13, v13, v15, v14
	.loc	1 122 52 is_stmt 0              ; triton_scaled_mm_aot.py:122:52
	v_lshlrev_b64 v[12:13], 1, v[12:13]
	v_add_co_u32_e64 v12, s[10:11], v22, v12
	v_addc_co_u32_e64 v13, s[10:11], v23, v13, s[10:11]
	.loc	1 125 21 is_stmt 1              ; triton_scaled_mm_aot.py:125:21
	global_store_short_d16_hi v[12:13], v41, off
	s_or_b64 exec, exec, s[12:13]
	.loc	1 123 39                        ; triton_scaled_mm_aot.py:123:39
	s_and_b64 s[8:9], s[14:15], s[8:9]
	.loc	1 125 21                        ; triton_scaled_mm_aot.py:125:21
	s_and_saveexec_b64 s[10:11], s[8:9]
	s_cbranch_execz .LBB0_84
.LBB0_100:
	.loc	1 122 64                        ; triton_scaled_mm_aot.py:122:64
	v_mul_lo_u32 v12, v11, s41
	v_mul_lo_u32 v13, v10, s33
	v_mad_u64_u32 v[10:11], s[8:9], v10, s41, 0
	v_add3_u32 v11, v11, v13, v12
	.loc	1 122 52 is_stmt 0              ; triton_scaled_mm_aot.py:122:52
	v_lshlrev_b64 v[10:11], 1, v[10:11]
	v_add_co_u32_e64 v10, s[8:9], v22, v10
	v_addc_co_u32_e64 v11, s[8:9], v23, v11, s[8:9]
	.loc	1 125 21 is_stmt 1              ; triton_scaled_mm_aot.py:125:21
	global_store_short v[10:11], v40, off
	s_or_b64 exec, exec, s[10:11]
	.loc	1 123 39                        ; triton_scaled_mm_aot.py:123:39
	s_and_b64 s[6:7], s[14:15], s[6:7]
	.loc	1 125 21                        ; triton_scaled_mm_aot.py:125:21
	s_and_saveexec_b64 s[8:9], s[6:7]
	s_cbranch_execz .LBB0_85
.LBB0_101:
	.loc	1 122 64                        ; triton_scaled_mm_aot.py:122:64
	v_mul_lo_u32 v10, v9, s41
	v_mul_lo_u32 v11, v8, s33
	v_mad_u64_u32 v[8:9], s[6:7], v8, s41, 0
	v_add3_u32 v9, v9, v11, v10
	.loc	1 122 52 is_stmt 0              ; triton_scaled_mm_aot.py:122:52
	v_lshlrev_b64 v[8:9], 1, v[8:9]
	v_add_co_u32_e64 v8, s[6:7], v22, v8
	v_addc_co_u32_e64 v9, s[6:7], v23, v9, s[6:7]
	.loc	1 125 21 is_stmt 1              ; triton_scaled_mm_aot.py:125:21
	global_store_short_d16_hi v[8:9], v40, off
	s_or_b64 exec, exec, s[8:9]
	.loc	1 123 39                        ; triton_scaled_mm_aot.py:123:39
	s_and_b64 s[4:5], s[14:15], s[4:5]
	.loc	1 125 21                        ; triton_scaled_mm_aot.py:125:21
	s_and_saveexec_b64 s[6:7], s[4:5]
	s_cbranch_execz .LBB0_86
.LBB0_102:
	.loc	1 122 64                        ; triton_scaled_mm_aot.py:122:64
	v_mul_lo_u32 v8, v7, s41
	v_mul_lo_u32 v9, v6, s33
	v_mad_u64_u32 v[6:7], s[4:5], v6, s41, 0
	v_add3_u32 v7, v7, v9, v8
	.loc	1 122 52 is_stmt 0              ; triton_scaled_mm_aot.py:122:52
	v_lshlrev_b64 v[6:7], 1, v[6:7]
	v_add_co_u32_e64 v6, s[4:5], v22, v6
	v_addc_co_u32_e64 v7, s[4:5], v23, v7, s[4:5]
	.loc	1 125 21 is_stmt 1              ; triton_scaled_mm_aot.py:125:21
	global_store_short v[6:7], v39, off
	s_or_b64 exec, exec, s[6:7]
	.loc	1 123 39                        ; triton_scaled_mm_aot.py:123:39
	s_and_b64 s[2:3], s[14:15], s[2:3]
	.loc	1 125 21                        ; triton_scaled_mm_aot.py:125:21
	s_and_saveexec_b64 s[4:5], s[2:3]
	s_cbranch_execz .LBB0_87
.LBB0_103:
	.loc	1 122 64                        ; triton_scaled_mm_aot.py:122:64
	v_mul_lo_u32 v6, v5, s41
	v_mul_lo_u32 v7, v4, s33
	v_mad_u64_u32 v[4:5], s[2:3], v4, s41, 0
	v_add3_u32 v5, v5, v7, v6
	.loc	1 122 52 is_stmt 0              ; triton_scaled_mm_aot.py:122:52
	v_lshlrev_b64 v[4:5], 1, v[4:5]
	v_add_co_u32_e64 v4, s[2:3], v22, v4
	v_addc_co_u32_e64 v5, s[2:3], v23, v5, s[2:3]
	.loc	1 125 21 is_stmt 1              ; triton_scaled_mm_aot.py:125:21
	global_store_short_d16_hi v[4:5], v39, off
	s_or_b64 exec, exec, s[4:5]
	.loc	1 123 39                        ; triton_scaled_mm_aot.py:123:39
	s_and_b64 s[0:1], s[14:15], s[0:1]
	.loc	1 125 21                        ; triton_scaled_mm_aot.py:125:21
	s_and_saveexec_b64 s[2:3], s[0:1]
	s_cbranch_execz .LBB0_88
.LBB0_104:
	.loc	1 122 64                        ; triton_scaled_mm_aot.py:122:64
	v_mul_lo_u32 v4, v3, s41
	v_mul_lo_u32 v5, v2, s33
	v_mad_u64_u32 v[2:3], s[0:1], v2, s41, 0
	v_add3_u32 v3, v3, v5, v4
	.loc	1 122 52 is_stmt 0              ; triton_scaled_mm_aot.py:122:52
	v_lshlrev_b64 v[2:3], 1, v[2:3]
	v_add_co_u32_e64 v2, s[0:1], v22, v2
	v_addc_co_u32_e64 v3, s[0:1], v23, v3, s[0:1]
	.loc	1 125 21 is_stmt 1              ; triton_scaled_mm_aot.py:125:21
	global_store_short v[2:3], v38, off
	s_or_b64 exec, exec, s[2:3]
	.loc	1 123 39                        ; triton_scaled_mm_aot.py:123:39
	s_and_b64 s[0:1], s[14:15], vcc
	.loc	1 125 21                        ; triton_scaled_mm_aot.py:125:21
	s_and_saveexec_b64 s[2:3], s[0:1]
	s_cbranch_execz .LBB0_89
.LBB0_105:
	.loc	1 122 64                        ; triton_scaled_mm_aot.py:122:64
	v_mul_lo_u32 v2, v1, s41
	v_mul_lo_u32 v3, v0, s33
	v_mad_u64_u32 v[0:1], s[0:1], v0, s41, 0
	v_add3_u32 v1, v1, v3, v2
	.loc	1 122 52 is_stmt 0              ; triton_scaled_mm_aot.py:122:52
	v_lshlrev_b64 v[0:1], 1, v[0:1]
	v_add_co_u32_e32 v0, vcc, v22, v0
	v_addc_co_u32_e32 v1, vcc, v23, v1, vcc
	.loc	1 125 21 is_stmt 1              ; triton_scaled_mm_aot.py:125:21
	global_store_short_d16_hi v[0:1], v38, off
	.loc	1 125 4 is_stmt 0               ; triton_scaled_mm_aot.py:125:4
	s_endpgm
.LBB0_106:
	.loc	1 0 0                           ; triton_scaled_mm_aot.py:0
	v_mov_b32_e32 v1, 0
	v_mov_b32_e32 v0, 0
	.loc	1 69 40 is_stmt 1               ; triton_scaled_mm_aot.py:69:40
	s_cmp_lt_i32 s39, 1
	.loc	1 102 45                        ; triton_scaled_mm_aot.py:102:45
	s_cbranch_scc0 .LBB0_38
	s_branch .LBB0_39
.Ltmp14:
	.section	.rodata,"a",@progbits
	.p2align	6, 0x0
	.amdhsa_kernel scaled_mm_kernel
		.amdhsa_group_segment_fixed_size 0
		.amdhsa_private_segment_fixed_size 0
		.amdhsa_kernarg_size 104
		.amdhsa_user_sgpr_count 16
		.amdhsa_user_sgpr_private_segment_buffer 1
		.amdhsa_user_sgpr_dispatch_ptr 0
		.amdhsa_user_sgpr_queue_ptr 0
		.amdhsa_user_sgpr_kernarg_segment_ptr 1
		.amdhsa_user_sgpr_dispatch_id 0
		.amdhsa_user_sgpr_flat_scratch_init 0
		.amdhsa_user_sgpr_kernarg_preload_length 10
		.amdhsa_user_sgpr_kernarg_preload_offset 0
		.amdhsa_user_sgpr_private_segment_size 0
		.amdhsa_uses_dynamic_stack 0
		.amdhsa_system_sgpr_private_segment_wavefront_offset 0
		.amdhsa_system_sgpr_workgroup_id_x 1
		.amdhsa_system_sgpr_workgroup_id_y 0
		.amdhsa_system_sgpr_workgroup_id_z 0
		.amdhsa_system_sgpr_workgroup_info 0
		.amdhsa_system_vgpr_workitem_id 0
		.amdhsa_next_free_vgpr 90
		.amdhsa_next_free_sgpr 52
		.amdhsa_accum_offset 92
		.amdhsa_reserve_vcc 1
		.amdhsa_reserve_flat_scratch 0
		.amdhsa_reserve_xnack_mask 1
		.amdhsa_float_round_mode_32 0
		.amdhsa_float_round_mode_16_64 0
		.amdhsa_float_denorm_mode_32 3
		.amdhsa_float_denorm_mode_16_64 3
		.amdhsa_dx10_clamp 1
		.amdhsa_ieee_mode 1
		.amdhsa_fp16_overflow 0
		.amdhsa_tg_split 0
		.amdhsa_exception_fp_ieee_invalid_op 0
		.amdhsa_exception_fp_denorm_src 0
		.amdhsa_exception_fp_ieee_div_zero 0
		.amdhsa_exception_fp_ieee_overflow 0
		.amdhsa_exception_fp_ieee_underflow 0
		.amdhsa_exception_fp_ieee_inexact 0
		.amdhsa_exception_int_div_zero 0
	.end_amdhsa_kernel
	.text
.Lfunc_end0:
	.size	scaled_mm_kernel, .Lfunc_end0-scaled_mm_kernel
	.cfi_endproc
                                        ; -- End function
	.set scaled_mm_kernel.num_vgpr, 90
	.set scaled_mm_kernel.num_agpr, 0
	.set scaled_mm_kernel.numbered_sgpr, 52
	.set scaled_mm_kernel.num_named_barrier, 0
	.set scaled_mm_kernel.private_seg_size, 0
	.set scaled_mm_kernel.uses_vcc, 1
	.set scaled_mm_kernel.uses_flat_scratch, 0
	.set scaled_mm_kernel.has_dyn_sized_stack, 0
	.set scaled_mm_kernel.has_recursion, 0
	.set scaled_mm_kernel.has_indirect_call, 0
	.section	.AMDGPU.csdata,"",@progbits
; Kernel info:
; codeLenInByte = 5964
; TotalNumSgprs: 56
; NumVgprs: 90
; NumAgprs: 0
; TotalNumVgprs: 90
; ScratchSize: 0
; MemoryBound: 0
; FloatMode: 240
; IeeeMode: 1
; LDSByteSize: 0 bytes/workgroup (compile time only)
; SGPRBlocks: 6
; VGPRBlocks: 11
; NumSGPRsForWavesPerEU: 56
; NumVGPRsForWavesPerEU: 90
; AccumOffset: 92
; Occupancy: 5
; WaveLimiterHint : 0
; COMPUTE_PGM_RSRC2:SCRATCH_EN: 0
; COMPUTE_PGM_RSRC2:USER_SGPR: 16
; COMPUTE_PGM_RSRC2:TRAP_HANDLER: 0
; COMPUTE_PGM_RSRC2:TGID_X_EN: 1
; COMPUTE_PGM_RSRC2:TGID_Y_EN: 0
; COMPUTE_PGM_RSRC2:TGID_Z_EN: 0
; COMPUTE_PGM_RSRC2:TIDIG_COMP_CNT: 0
; COMPUTE_PGM_RSRC3_GFX90A:ACCUM_OFFSET: 22
; COMPUTE_PGM_RSRC3_GFX90A:TG_SPLIT: 0
	.text
	.p2alignl 6, 3212836864
	.fill 256, 4, 3212836864
	.section	.AMDGPU.gpr_maximums,"",@progbits
	.set amdgpu.max_num_vgpr, 0
	.set amdgpu.max_num_agpr, 0
	.set amdgpu.max_num_sgpr, 0
	.set amdgpu.max_num_named_barrier, 0
	.text
	.section	.debug_abbrev,"",@progbits
	.byte	1                               ; Abbreviation Code
	.byte	17                              ; DW_TAG_compile_unit
	.byte	1                               ; DW_CHILDREN_yes
	.byte	37                              ; DW_AT_producer
	.byte	14                              ; DW_FORM_strp
	.byte	19                              ; DW_AT_language
	.byte	5                               ; DW_FORM_data2
	.byte	3                               ; DW_AT_name
	.byte	14                              ; DW_FORM_strp
	.byte	16                              ; DW_AT_stmt_list
	.byte	23                              ; DW_FORM_sec_offset
	.byte	27                              ; DW_AT_comp_dir
	.byte	14                              ; DW_FORM_strp
	.byte	17                              ; DW_AT_low_pc
	.byte	1                               ; DW_FORM_addr
	.byte	18                              ; DW_AT_high_pc
	.byte	6                               ; DW_FORM_data4
	.byte	0                               ; EOM(1)
	.byte	0                               ; EOM(2)
	.byte	2                               ; Abbreviation Code
	.byte	46                              ; DW_TAG_subprogram
	.byte	0                               ; DW_CHILDREN_no
	.byte	3                               ; DW_AT_name
	.byte	14                              ; DW_FORM_strp
	.byte	32                              ; DW_AT_inline
	.byte	11                              ; DW_FORM_data1
	.byte	0                               ; EOM(1)
	.byte	0                               ; EOM(2)
	.byte	3                               ; Abbreviation Code
	.byte	46                              ; DW_TAG_subprogram
	.byte	1                               ; DW_CHILDREN_yes
	.byte	17                              ; DW_AT_low_pc
	.byte	1                               ; DW_FORM_addr
	.byte	18                              ; DW_AT_high_pc
	.byte	6                               ; DW_FORM_data4
	.byte	49                              ; DW_AT_abstract_origin
	.byte	19                              ; DW_FORM_ref4
	.byte	0                               ; EOM(1)
	.byte	0                               ; EOM(2)
	.byte	4                               ; Abbreviation Code
	.byte	29                              ; DW_TAG_inlined_subroutine
	.byte	0                               ; DW_CHILDREN_no
	.byte	49                              ; DW_AT_abstract_origin
	.byte	19                              ; DW_FORM_ref4
	.byte	17                              ; DW_AT_low_pc
	.byte	1                               ; DW_FORM_addr
	.byte	18                              ; DW_AT_high_pc
	.byte	6                               ; DW_FORM_data4
	.byte	88                              ; DW_AT_call_file
	.byte	11                              ; DW_FORM_data1
	.byte	89                              ; DW_AT_call_line
	.byte	11                              ; DW_FORM_data1
	.byte	87                              ; DW_AT_call_column
	.byte	11                              ; DW_FORM_data1
	.byte	0                               ; EOM(1)
	.byte	0                               ; EOM(2)
	.byte	5                               ; Abbreviation Code
	.byte	29                              ; DW_TAG_inlined_subroutine
	.byte	0                               ; DW_CHILDREN_no
	.byte	49                              ; DW_AT_abstract_origin
	.byte	19                              ; DW_FORM_ref4
	.byte	85                              ; DW_AT_ranges
	.byte	23                              ; DW_FORM_sec_offset
	.byte	88                              ; DW_AT_call_file
	.byte	11                              ; DW_FORM_data1
	.byte	89                              ; DW_AT_call_line
	.byte	11                              ; DW_FORM_data1
	.byte	87                              ; DW_AT_call_column
	.byte	11                              ; DW_FORM_data1
	.byte	0                               ; EOM(1)
	.byte	0                               ; EOM(2)
	;; [unrolled: 1-line block ×3, first 2 shown]
	.section	.debug_info,"",@progbits
.Lcu_begin0:
	.long	.Ldebug_info_end0-.Ldebug_info_start0 ; Length of Unit
.Ldebug_info_start0:
	.short	4                               ; DWARF version number
	.long	.debug_abbrev                   ; Offset Into Abbrev. Section
	.byte	8                               ; Address Size (in bytes)
	.byte	1                               ; Abbrev [1] 0xb:0x58 DW_TAG_compile_unit
	.long	.Linfo_string0                  ; DW_AT_producer
	.short	2                               ; DW_AT_language
	.long	.Linfo_string1                  ; DW_AT_name
	.long	.Lline_table_start0             ; DW_AT_stmt_list
	.long	.Linfo_string2                  ; DW_AT_comp_dir
	.quad	.Lfunc_begin0                   ; DW_AT_low_pc
	.long	.Lfunc_end0-.Lfunc_begin0       ; DW_AT_high_pc
	.byte	2                               ; Abbrev [2] 0x2a:0x6 DW_TAG_subprogram
	.long	.Linfo_string3                  ; DW_AT_name
	.byte	1                               ; DW_AT_inline
	.byte	3                               ; Abbrev [3] 0x30:0x32 DW_TAG_subprogram
	.quad	.Lfunc_begin0                   ; DW_AT_low_pc
	.long	.Lfunc_end0-.Lfunc_begin0       ; DW_AT_high_pc
	.long	42                              ; DW_AT_abstract_origin
	.byte	4                               ; Abbrev [4] 0x41:0x14 DW_TAG_inlined_subroutine
	.long	42                              ; DW_AT_abstract_origin
	.quad	.Ltmp2                          ; DW_AT_low_pc
	.long	.Ltmp3-.Ltmp2                   ; DW_AT_high_pc
	.byte	1                               ; DW_AT_call_file
	.byte	33                              ; DW_AT_call_line
	.byte	27                              ; DW_AT_call_column
	.byte	5                               ; Abbrev [5] 0x55:0xc DW_TAG_inlined_subroutine
	.long	42                              ; DW_AT_abstract_origin
	.long	.Ldebug_ranges0                 ; DW_AT_ranges
	.byte	1                               ; DW_AT_call_file
	.byte	77                              ; DW_AT_call_line
	.byte	33                              ; DW_AT_call_column
	.byte	0                               ; End Of Children Mark
	.byte	0                               ; End Of Children Mark
.Ldebug_info_end0:
	.section	.debug_ranges,"",@progbits
.Ldebug_ranges0:
	.quad	.Ltmp4-.Lfunc_begin0
	.quad	.Ltmp5-.Lfunc_begin0
	;; [unrolled: 1-line block ×10, first 2 shown]
	.quad	0
	.quad	0
	.section	.debug_str,"MS",@progbits,1
.Linfo_string0:
	.asciz	"triton"                        ; string offset=0
.Linfo_string1:
	.asciz	"triton_scaled_mm_aot.py"       ; string offset=7
.Linfo_string2:
	.asciz	"/root/src/amdgpu-assembly/repos/vllm-project__vllm/triton_aot_kernels" ; string offset=31
.Linfo_string3:
	.asciz	"scaled_mm_kernel"              ; string offset=101
	.section	".note.GNU-stack","",@progbits
	.amdgpu_metadata
---
amdhsa.kernels:
  - .agpr_count:     0
    .args:
      - .address_space:  global
        .offset:         0
        .size:           8
        .value_kind:     global_buffer
      - .address_space:  global
        .offset:         8
        .size:           8
        .value_kind:     global_buffer
      - .address_space:  global
        .offset:         16
        .size:           8
        .value_kind:     global_buffer
      - .address_space:  global
        .offset:         24
        .size:           8
        .value_kind:     global_buffer
      - .address_space:  global
        .offset:         32
        .size:           8
        .value_kind:     global_buffer
      - .address_space:  global
        .offset:         40
        .size:           8
        .value_kind:     global_buffer
      - .offset:         48
        .size:           4
        .value_kind:     by_value
      - .offset:         52
        .size:           4
        .value_kind:     by_value
      - .offset:         56
        .size:           4
        .value_kind:     by_value
      - .offset:         60
        .size:           4
        .value_kind:     by_value
      - .offset:         64
        .size:           4
        .value_kind:     by_value
      - .offset:         68
        .size:           4
        .value_kind:     by_value
      - .offset:         72
        .size:           4
        .value_kind:     by_value
      - .offset:         76
        .size:           4
        .value_kind:     by_value
      - .offset:         80
        .size:           4
        .value_kind:     by_value
      - .address_space:  global
        .offset:         88
        .size:           8
        .value_kind:     global_buffer
      - .address_space:  global
        .offset:         96
        .size:           8
        .value_kind:     global_buffer
    .group_segment_fixed_size: 0
    .kernarg_segment_align: 8
    .kernarg_segment_size: 104
    .max_flat_workgroup_size: 256
    .name:           scaled_mm_kernel
    .private_segment_fixed_size: 0
    .sgpr_count:     56
    .sgpr_spill_count: 0
    .symbol:         scaled_mm_kernel.kd
    .uniform_work_group_size: 1
    .uses_dynamic_stack: false
    .vgpr_count:     90
    .vgpr_spill_count: 0
    .wavefront_size: 64
amdhsa.target:   amdgcn-amd-amdhsa--gfx90a
amdhsa.version:
  - 1
  - 2
...

	.end_amdgpu_metadata
	.section	.debug_line,"",@progbits
.Lline_table_start0:
